;; amdgpu-corpus repo=ROCm/rocFFT kind=compiled arch=gfx1030 opt=O3
	.text
	.amdgcn_target "amdgcn-amd-amdhsa--gfx1030"
	.amdhsa_code_object_version 6
	.protected	fft_rtc_fwd_len264_factors_8_3_11_wgs_231_tpt_33_sp_op_CI_CI_unitstride_sbrr_dirReg ; -- Begin function fft_rtc_fwd_len264_factors_8_3_11_wgs_231_tpt_33_sp_op_CI_CI_unitstride_sbrr_dirReg
	.globl	fft_rtc_fwd_len264_factors_8_3_11_wgs_231_tpt_33_sp_op_CI_CI_unitstride_sbrr_dirReg
	.p2align	8
	.type	fft_rtc_fwd_len264_factors_8_3_11_wgs_231_tpt_33_sp_op_CI_CI_unitstride_sbrr_dirReg,@function
fft_rtc_fwd_len264_factors_8_3_11_wgs_231_tpt_33_sp_op_CI_CI_unitstride_sbrr_dirReg: ; @fft_rtc_fwd_len264_factors_8_3_11_wgs_231_tpt_33_sp_op_CI_CI_unitstride_sbrr_dirReg
; %bb.0:
	s_load_dwordx4 s[12:15], s[4:5], 0x0
	v_mul_u32_u24_e32 v1, 0x7c2, v0
	s_clause 0x1
	s_load_dwordx4 s[8:11], s[4:5], 0x58
	s_load_dwordx4 s[16:19], s[4:5], 0x18
	v_mov_b32_e32 v5, 0
	v_mov_b32_e32 v3, 0
	;; [unrolled: 1-line block ×3, first 2 shown]
	v_lshrrev_b32_e32 v1, 16, v1
	v_mov_b32_e32 v25, v4
	v_mad_u64_u32 v[1:2], null, s6, 7, v[1:2]
	v_mov_b32_e32 v2, v5
	v_mov_b32_e32 v24, v3
	;; [unrolled: 1-line block ×4, first 2 shown]
	s_waitcnt lgkmcnt(0)
	v_cmp_lt_u64_e64 s0, s[14:15], 2
	s_and_b32 vcc_lo, exec_lo, s0
	s_cbranch_vccnz .LBB0_8
; %bb.1:
	s_load_dwordx2 s[0:1], s[4:5], 0x10
	v_mov_b32_e32 v3, 0
	v_mov_b32_e32 v4, 0
	s_add_u32 s2, s18, 8
	v_mov_b32_e32 v8, v2
	s_addc_u32 s3, s19, 0
	v_mov_b32_e32 v7, v1
	v_mov_b32_e32 v25, v4
	s_add_u32 s6, s16, 8
	v_mov_b32_e32 v24, v3
	s_addc_u32 s7, s17, 0
	s_mov_b64 s[22:23], 1
	s_waitcnt lgkmcnt(0)
	s_add_u32 s20, s0, 8
	s_addc_u32 s21, s1, 0
.LBB0_2:                                ; =>This Inner Loop Header: Depth=1
	s_load_dwordx2 s[24:25], s[20:21], 0x0
                                        ; implicit-def: $vgpr27_vgpr28
	s_mov_b32 s0, exec_lo
	s_waitcnt lgkmcnt(0)
	v_or_b32_e32 v6, s25, v8
	v_cmpx_ne_u64_e32 0, v[5:6]
	s_xor_b32 s1, exec_lo, s0
	s_cbranch_execz .LBB0_4
; %bb.3:                                ;   in Loop: Header=BB0_2 Depth=1
	v_cvt_f32_u32_e32 v2, s24
	v_cvt_f32_u32_e32 v6, s25
	s_sub_u32 s0, 0, s24
	s_subb_u32 s26, 0, s25
	v_fmac_f32_e32 v2, 0x4f800000, v6
	v_rcp_f32_e32 v2, v2
	v_mul_f32_e32 v2, 0x5f7ffffc, v2
	v_mul_f32_e32 v6, 0x2f800000, v2
	v_trunc_f32_e32 v6, v6
	v_fmac_f32_e32 v2, 0xcf800000, v6
	v_cvt_u32_f32_e32 v6, v6
	v_cvt_u32_f32_e32 v2, v2
	v_mul_lo_u32 v9, s0, v6
	v_mul_hi_u32 v10, s0, v2
	v_mul_lo_u32 v11, s26, v2
	v_add_nc_u32_e32 v9, v10, v9
	v_mul_lo_u32 v10, s0, v2
	v_add_nc_u32_e32 v9, v9, v11
	v_mul_hi_u32 v11, v2, v10
	v_mul_lo_u32 v12, v2, v9
	v_mul_hi_u32 v13, v2, v9
	v_mul_hi_u32 v14, v6, v10
	v_mul_lo_u32 v10, v6, v10
	v_mul_hi_u32 v15, v6, v9
	v_mul_lo_u32 v9, v6, v9
	v_add_co_u32 v11, vcc_lo, v11, v12
	v_add_co_ci_u32_e32 v12, vcc_lo, 0, v13, vcc_lo
	v_add_co_u32 v10, vcc_lo, v11, v10
	v_add_co_ci_u32_e32 v10, vcc_lo, v12, v14, vcc_lo
	v_add_co_ci_u32_e32 v11, vcc_lo, 0, v15, vcc_lo
	v_add_co_u32 v9, vcc_lo, v10, v9
	v_add_co_ci_u32_e32 v10, vcc_lo, 0, v11, vcc_lo
	v_add_co_u32 v2, vcc_lo, v2, v9
	v_add_co_ci_u32_e32 v6, vcc_lo, v6, v10, vcc_lo
	v_mul_hi_u32 v9, s0, v2
	v_mul_lo_u32 v11, s26, v2
	v_mul_lo_u32 v10, s0, v6
	v_add_nc_u32_e32 v9, v9, v10
	v_mul_lo_u32 v10, s0, v2
	v_add_nc_u32_e32 v9, v9, v11
	v_mul_hi_u32 v11, v2, v10
	v_mul_lo_u32 v12, v2, v9
	v_mul_hi_u32 v13, v2, v9
	v_mul_hi_u32 v14, v6, v10
	v_mul_lo_u32 v10, v6, v10
	v_mul_hi_u32 v15, v6, v9
	v_mul_lo_u32 v9, v6, v9
	v_add_co_u32 v11, vcc_lo, v11, v12
	v_add_co_ci_u32_e32 v12, vcc_lo, 0, v13, vcc_lo
	v_add_co_u32 v10, vcc_lo, v11, v10
	v_add_co_ci_u32_e32 v10, vcc_lo, v12, v14, vcc_lo
	v_add_co_ci_u32_e32 v11, vcc_lo, 0, v15, vcc_lo
	v_add_co_u32 v9, vcc_lo, v10, v9
	v_add_co_ci_u32_e32 v10, vcc_lo, 0, v11, vcc_lo
	v_add_co_u32 v2, vcc_lo, v2, v9
	v_add_co_ci_u32_e32 v6, vcc_lo, v6, v10, vcc_lo
	v_mul_hi_u32 v15, v7, v2
	v_mad_u64_u32 v[11:12], null, v8, v2, 0
	v_mad_u64_u32 v[9:10], null, v7, v6, 0
	;; [unrolled: 1-line block ×3, first 2 shown]
	v_add_co_u32 v2, vcc_lo, v15, v9
	v_add_co_ci_u32_e32 v6, vcc_lo, 0, v10, vcc_lo
	v_add_co_u32 v2, vcc_lo, v2, v11
	v_add_co_ci_u32_e32 v2, vcc_lo, v6, v12, vcc_lo
	v_add_co_ci_u32_e32 v6, vcc_lo, 0, v14, vcc_lo
	v_add_co_u32 v2, vcc_lo, v2, v13
	v_add_co_ci_u32_e32 v6, vcc_lo, 0, v6, vcc_lo
	v_mul_lo_u32 v11, s25, v2
	v_mad_u64_u32 v[9:10], null, s24, v2, 0
	v_mul_lo_u32 v12, s24, v6
	v_sub_co_u32 v9, vcc_lo, v7, v9
	v_add3_u32 v10, v10, v12, v11
	v_sub_nc_u32_e32 v11, v8, v10
	v_subrev_co_ci_u32_e64 v11, s0, s25, v11, vcc_lo
	v_add_co_u32 v12, s0, v2, 2
	v_add_co_ci_u32_e64 v13, s0, 0, v6, s0
	v_sub_co_u32 v14, s0, v9, s24
	v_sub_co_ci_u32_e32 v10, vcc_lo, v8, v10, vcc_lo
	v_subrev_co_ci_u32_e64 v11, s0, 0, v11, s0
	v_cmp_le_u32_e32 vcc_lo, s24, v14
	v_cmp_eq_u32_e64 s0, s25, v10
	v_cndmask_b32_e64 v14, 0, -1, vcc_lo
	v_cmp_le_u32_e32 vcc_lo, s25, v11
	v_cndmask_b32_e64 v15, 0, -1, vcc_lo
	v_cmp_le_u32_e32 vcc_lo, s24, v9
	;; [unrolled: 2-line block ×3, first 2 shown]
	v_cndmask_b32_e64 v16, 0, -1, vcc_lo
	v_cmp_eq_u32_e32 vcc_lo, s25, v11
	v_cndmask_b32_e64 v9, v16, v9, s0
	v_cndmask_b32_e32 v11, v15, v14, vcc_lo
	v_add_co_u32 v14, vcc_lo, v2, 1
	v_add_co_ci_u32_e32 v15, vcc_lo, 0, v6, vcc_lo
	v_cmp_ne_u32_e32 vcc_lo, 0, v11
	v_cndmask_b32_e32 v10, v15, v13, vcc_lo
	v_cndmask_b32_e32 v11, v14, v12, vcc_lo
	v_cmp_ne_u32_e32 vcc_lo, 0, v9
	v_cndmask_b32_e32 v28, v6, v10, vcc_lo
	v_cndmask_b32_e32 v27, v2, v11, vcc_lo
.LBB0_4:                                ;   in Loop: Header=BB0_2 Depth=1
	s_andn2_saveexec_b32 s0, s1
	s_cbranch_execz .LBB0_6
; %bb.5:                                ;   in Loop: Header=BB0_2 Depth=1
	v_cvt_f32_u32_e32 v2, s24
	s_sub_i32 s1, 0, s24
	v_mov_b32_e32 v28, v5
	v_rcp_iflag_f32_e32 v2, v2
	v_mul_f32_e32 v2, 0x4f7ffffe, v2
	v_cvt_u32_f32_e32 v2, v2
	v_mul_lo_u32 v6, s1, v2
	v_mul_hi_u32 v6, v2, v6
	v_add_nc_u32_e32 v2, v2, v6
	v_mul_hi_u32 v2, v7, v2
	v_mul_lo_u32 v6, v2, s24
	v_add_nc_u32_e32 v9, 1, v2
	v_sub_nc_u32_e32 v6, v7, v6
	v_subrev_nc_u32_e32 v10, s24, v6
	v_cmp_le_u32_e32 vcc_lo, s24, v6
	v_cndmask_b32_e32 v6, v6, v10, vcc_lo
	v_cndmask_b32_e32 v2, v2, v9, vcc_lo
	v_cmp_le_u32_e32 vcc_lo, s24, v6
	v_add_nc_u32_e32 v9, 1, v2
	v_cndmask_b32_e32 v27, v2, v9, vcc_lo
.LBB0_6:                                ;   in Loop: Header=BB0_2 Depth=1
	s_or_b32 exec_lo, exec_lo, s0
	v_mul_lo_u32 v2, v28, s24
	v_mul_lo_u32 v6, v27, s25
	s_load_dwordx2 s[0:1], s[6:7], 0x0
	v_mad_u64_u32 v[9:10], null, v27, s24, 0
	s_load_dwordx2 s[24:25], s[2:3], 0x0
	s_add_u32 s22, s22, 1
	s_addc_u32 s23, s23, 0
	s_add_u32 s2, s2, 8
	s_addc_u32 s3, s3, 0
	s_add_u32 s6, s6, 8
	v_add3_u32 v2, v10, v6, v2
	v_sub_co_u32 v6, vcc_lo, v7, v9
	s_addc_u32 s7, s7, 0
	s_add_u32 s20, s20, 8
	v_sub_co_ci_u32_e32 v2, vcc_lo, v8, v2, vcc_lo
	s_addc_u32 s21, s21, 0
	s_waitcnt lgkmcnt(0)
	v_mul_lo_u32 v7, s0, v2
	v_mul_lo_u32 v8, s1, v6
	v_mad_u64_u32 v[3:4], null, s0, v6, v[3:4]
	v_mul_lo_u32 v2, s24, v2
	v_mul_lo_u32 v9, s25, v6
	v_mad_u64_u32 v[24:25], null, s24, v6, v[24:25]
	v_cmp_ge_u64_e64 s0, s[22:23], s[14:15]
	v_add3_u32 v4, v8, v4, v7
	v_add3_u32 v25, v9, v25, v2
	s_and_b32 vcc_lo, exec_lo, s0
	s_cbranch_vccnz .LBB0_8
; %bb.7:                                ;   in Loop: Header=BB0_2 Depth=1
	v_mov_b32_e32 v7, v27
	v_mov_b32_e32 v8, v28
	s_branch .LBB0_2
.LBB0_8:
	s_load_dwordx2 s[0:1], s[4:5], 0x28
	v_mul_hi_u32 v2, 0x7c1f07d, v0
	s_lshl_b64 s[4:5], s[14:15], 3
                                        ; implicit-def: $sgpr6_sgpr7
                                        ; implicit-def: $vgpr26
	s_add_u32 s2, s18, s4
	s_addc_u32 s3, s19, s5
	s_waitcnt lgkmcnt(0)
	v_cmp_gt_u64_e32 vcc_lo, s[0:1], v[27:28]
	v_cmp_le_u64_e64 s0, s[0:1], v[27:28]
	s_and_saveexec_b32 s1, s0
	s_xor_b32 s0, exec_lo, s1
; %bb.9:
	v_mul_u32_u24_e32 v2, 33, v2
	s_mov_b64 s[6:7], 0
                                        ; implicit-def: $vgpr3_vgpr4
	v_sub_nc_u32_e32 v26, v0, v2
                                        ; implicit-def: $vgpr2
                                        ; implicit-def: $vgpr0
; %bb.10:
	s_or_saveexec_b32 s1, s0
	v_mov_b32_e32 v5, s6
	v_mov_b32_e32 v12, s7
	;; [unrolled: 1-line block ×8, first 2 shown]
                                        ; implicit-def: $vgpr18
                                        ; implicit-def: $vgpr14
                                        ; implicit-def: $vgpr20
                                        ; implicit-def: $vgpr16
	s_xor_b32 exec_lo, exec_lo, s1
	s_cbranch_execz .LBB0_12
; %bb.11:
	s_add_u32 s4, s16, s4
	s_addc_u32 s5, s17, s5
	s_load_dwordx2 s[4:5], s[4:5], 0x0
	s_waitcnt lgkmcnt(0)
	v_mul_lo_u32 v7, s5, v27
	v_mul_lo_u32 v8, s4, v28
	v_mad_u64_u32 v[5:6], null, s4, v27, 0
	v_add3_u32 v6, v6, v8, v7
	v_mul_u32_u24_e32 v7, 33, v2
	v_lshlrev_b64 v[2:3], 3, v[3:4]
	v_lshlrev_b64 v[5:6], 3, v[5:6]
	v_sub_nc_u32_e32 v26, v0, v7
	v_add_co_u32 v0, s0, s8, v5
	v_add_co_ci_u32_e64 v4, s0, s9, v6, s0
	v_lshlrev_b32_e32 v5, 3, v26
	v_add_co_u32 v0, s0, v0, v2
	v_add_co_ci_u32_e64 v3, s0, v4, v3, s0
	v_add_co_u32 v2, s0, v0, v5
	v_add_co_ci_u32_e64 v3, s0, 0, v3, s0
	s_clause 0x7
	global_load_dwordx2 v[5:6], v[2:3], off
	global_load_dwordx2 v[7:8], v[2:3], off offset:264
	global_load_dwordx2 v[11:12], v[2:3], off offset:528
	;; [unrolled: 1-line block ×7, first 2 shown]
.LBB0_12:
	s_or_b32 exec_lo, exec_lo, s1
	v_mul_hi_u32 v0, 0x24924925, v1
	s_waitcnt vmcnt(3)
	v_sub_f32_e32 v3, v6, v18
	v_sub_f32_e32 v2, v5, v17
	s_waitcnt vmcnt(1)
	v_sub_f32_e32 v17, v12, v20
	v_sub_f32_e32 v13, v7, v13
	;; [unrolled: 3-line block ×3, first 2 shown]
	v_fma_f32 v6, v6, 2.0, -v3
	v_sub_nc_u32_e32 v18, v1, v0
	v_fma_f32 v12, v12, 2.0, -v17
	v_sub_f32_e32 v4, v11, v19
	v_sub_f32_e32 v14, v8, v14
	v_fma_f32 v7, v7, 2.0, -v13
	v_lshrrev_b32_e32 v18, 1, v18
	v_fma_f32 v9, v9, 2.0, -v15
	v_sub_f32_e32 v17, v2, v17
	v_sub_f32_e32 v20, v6, v12
	;; [unrolled: 1-line block ×3, first 2 shown]
	v_add_nc_u32_e32 v0, v18, v0
	v_fma_f32 v5, v5, 2.0, -v2
	v_fma_f32 v11, v11, 2.0, -v4
	;; [unrolled: 1-line block ×4, first 2 shown]
	v_lshrrev_b32_e32 v0, 2, v0
	v_add_f32_e32 v21, v4, v3
	v_add_f32_e32 v15, v15, v14
	v_fma_f32 v2, v2, 2.0, -v17
	v_sub_f32_e32 v22, v7, v9
	v_fma_f32 v9, v13, 2.0, -v12
	v_mul_lo_u32 v0, v0, 7
	v_sub_f32_e32 v19, v5, v11
	v_sub_f32_e32 v23, v8, v10
	v_fma_f32 v3, v3, 2.0, -v21
	v_fma_f32 v10, v14, 2.0, -v15
	v_fmamk_f32 v4, v9, 0xbf3504f3, v2
	v_fma_f32 v11, v5, 2.0, -v19
	v_fma_f32 v16, v6, 2.0, -v20
	;; [unrolled: 1-line block ×3, first 2 shown]
	v_fmamk_f32 v5, v10, 0xbf3504f3, v3
	v_fma_f32 v7, v8, 2.0, -v23
	v_sub_nc_u32_e32 v0, v1, v0
	v_fmac_f32_e32 v4, 0xbf3504f3, v10
	v_sub_f32_e32 v6, v11, v6
	v_fmac_f32_e32 v5, 0x3f3504f3, v9
	v_sub_f32_e32 v7, v16, v7
	v_mul_u32_u24_e32 v18, 0x108, v0
	v_fma_f32 v10, v2, 2.0, -v4
	v_fmamk_f32 v2, v12, 0x3f3504f3, v17
	v_fma_f32 v8, v11, 2.0, -v6
	v_fma_f32 v11, v3, 2.0, -v5
	v_fmamk_f32 v3, v15, 0x3f3504f3, v21
	v_fma_f32 v9, v16, 2.0, -v7
	v_fmac_f32_e32 v2, 0xbf3504f3, v15
	v_lshl_add_u32 v16, v18, 3, 0
	v_sub_f32_e32 v0, v19, v23
	v_fmac_f32_e32 v3, 0x3f3504f3, v12
	v_add_f32_e32 v1, v20, v22
	v_fma_f32 v14, v17, 2.0, -v2
	v_lshl_add_u32 v17, v26, 6, v16
	v_fma_f32 v12, v19, 2.0, -v0
	v_fma_f32 v15, v21, 2.0, -v3
	v_lshl_add_u32 v21, v26, 3, v16
	v_fma_f32 v13, v20, 2.0, -v1
	v_mad_i32_i24 v20, 0xffffffc8, v26, v17
	s_load_dwordx2 s[2:3], s[2:3], 0x0
	ds_write2_b64 v17, v[8:9], v[10:11] offset1:1
	ds_write2_b64 v17, v[12:13], v[14:15] offset0:2 offset1:3
	ds_write2_b64 v17, v[6:7], v[4:5] offset0:4 offset1:5
	;; [unrolled: 1-line block ×3, first 2 shown]
	s_waitcnt lgkmcnt(0)
	s_barrier
	buffer_gl0_inv
	ds_read_b64 v[10:11], v21
	ds_read_b64 v[8:9], v20 offset:1672
	s_waitcnt lgkmcnt(1)
	ds_read_b32 v11, v21 offset:4
	ds_read2_b64 v[4:7], v20 offset0:33 offset1:88
	ds_read2_b64 v[12:15], v20 offset0:121 offset1:176
	v_cmp_gt_u32_e64 s0, 22, v26
                                        ; implicit-def: $vgpr17
	s_and_saveexec_b32 s1, s0
	s_cbranch_execz .LBB0_14
; %bb.13:
	ds_read2_b64 v[0:3], v20 offset0:66 offset1:154
	ds_read_b64 v[16:17], v20 offset:1936
.LBB0_14:
	s_or_b32 exec_lo, exec_lo, s1
	v_and_b32_e32 v23, 7, v26
	v_add_nc_u32_e32 v41, 33, v26
	v_add_nc_u32_e32 v19, 0x42, v26
	v_lshrrev_b32_e32 v43, 3, v26
	v_lshlrev_b32_e32 v18, 3, v18
	v_lshlrev_b32_e32 v22, 4, v23
	v_and_b32_e32 v42, 7, v41
	v_lshrrev_b32_e32 v41, 3, v41
	v_mul_u32_u24_e32 v43, 24, v43
	global_load_dwordx4 v[29:32], v22, s[12:13]
	v_and_b32_e32 v22, 7, v19
	v_lshlrev_b32_e32 v33, 4, v42
	v_mul_u32_u24_e32 v41, 24, v41
	v_or_b32_e32 v23, v43, v23
	v_lshlrev_b32_e32 v37, 4, v22
	s_clause 0x1
	global_load_dwordx4 v[33:36], v33, s[12:13]
	global_load_dwordx4 v[37:40], v37, s[12:13]
	v_or_b32_e32 v41, v41, v42
	v_lshlrev_b32_e32 v23, 3, v23
	s_waitcnt vmcnt(0) lgkmcnt(0)
	s_barrier
	buffer_gl0_inv
	v_lshlrev_b32_e32 v41, 3, v41
	v_add3_u32 v23, 0, v23, v18
	v_add3_u32 v41, 0, v41, v18
	v_mul_f32_e32 v42, v30, v7
	v_mul_f32_e32 v30, v30, v6
	v_mul_f32_e32 v43, v32, v15
	v_mul_f32_e32 v32, v32, v14
	v_fma_f32 v6, v29, v6, -v42
	v_fmac_f32_e32 v30, v29, v7
	v_fma_f32 v7, v31, v14, -v43
	v_fmac_f32_e32 v32, v31, v15
	v_mul_f32_e32 v14, v34, v13
	v_mul_f32_e32 v15, v34, v12
	;; [unrolled: 1-line block ×8, first 2 shown]
	v_fma_f32 v12, v33, v12, -v14
	v_fmac_f32_e32 v15, v33, v13
	v_fma_f32 v13, v35, v8, -v29
	v_fmac_f32_e32 v31, v35, v9
	;; [unrolled: 2-line block ×4, first 2 shown]
	v_add_f32_e32 v3, v6, v7
	v_add_f32_e32 v16, v11, v30
	;; [unrolled: 1-line block ×5, first 2 shown]
	v_fmac_f32_e32 v10, -0.5, v3
	v_add_f32_e32 v3, v16, v32
	v_fmac_f32_e32 v11, -0.5, v17
	v_add_f32_e32 v16, v12, v13
	v_sub_f32_e32 v17, v15, v31
	v_add_f32_e32 v15, v15, v31
	v_add_f32_e32 v33, v8, v14
	v_sub_f32_e32 v34, v36, v40
	v_add_f32_e32 v35, v1, v36
	v_add_f32_e32 v36, v36, v40
	v_sub_f32_e32 v9, v30, v32
	v_sub_f32_e32 v6, v6, v7
	v_add_f32_e32 v2, v2, v7
	v_add_f32_e32 v7, v4, v12
	v_sub_f32_e32 v30, v12, v13
	v_add_f32_e32 v32, v0, v8
	v_sub_f32_e32 v37, v8, v14
	v_fma_f32 v4, -0.5, v16, v4
	v_fmac_f32_e32 v5, -0.5, v15
	v_fmac_f32_e32 v0, -0.5, v33
	;; [unrolled: 1-line block ×3, first 2 shown]
	v_fmamk_f32 v8, v9, 0x3f5db3d7, v10
	v_fmac_f32_e32 v10, 0xbf5db3d7, v9
	v_fmamk_f32 v9, v6, 0xbf5db3d7, v11
	v_fmac_f32_e32 v11, 0x3f5db3d7, v6
	v_add_f32_e32 v12, v7, v13
	v_add_f32_e32 v13, v29, v31
	;; [unrolled: 1-line block ×4, first 2 shown]
	v_fmamk_f32 v14, v17, 0x3f5db3d7, v4
	v_fmac_f32_e32 v4, 0xbf5db3d7, v17
	v_fmamk_f32 v15, v30, 0xbf5db3d7, v5
	v_fmac_f32_e32 v5, 0x3f5db3d7, v30
	;; [unrolled: 2-line block ×4, first 2 shown]
	ds_write2_b64 v23, v[2:3], v[8:9] offset1:8
	ds_write_b64 v23, v[10:11] offset:128
	ds_write2_b64 v41, v[12:13], v[14:15] offset1:8
	ds_write_b64 v41, v[4:5] offset:128
	s_and_saveexec_b32 s1, s0
	s_cbranch_execz .LBB0_16
; %bb.15:
	v_lshrrev_b32_e32 v19, 3, v19
	v_mul_u32_u24_e32 v19, 24, v19
	v_or_b32_e32 v19, v19, v22
	v_lshlrev_b32_e32 v19, 3, v19
	v_add3_u32 v18, 0, v19, v18
	ds_write2_b64 v18, v[6:7], v[16:17] offset1:8
	ds_write_b64 v18, v[0:1] offset:128
.LBB0_16:
	s_or_b32 exec_lo, exec_lo, s1
	v_cmp_gt_u32_e64 s0, 24, v26
	s_waitcnt lgkmcnt(0)
	s_barrier
	buffer_gl0_inv
                                        ; implicit-def: $vgpr23
	s_and_saveexec_b32 s1, s0
	s_cbranch_execz .LBB0_18
; %bb.17:
	ds_read2_b64 v[16:19], v20 offset0:168 offset1:192
	ds_read_b64 v[2:3], v21
	ds_read2_b64 v[8:11], v20 offset0:24 offset1:48
	ds_read2_b64 v[12:15], v20 offset0:72 offset1:96
	;; [unrolled: 1-line block ×4, first 2 shown]
	s_waitcnt lgkmcnt(5)
	v_mov_b32_e32 v1, v19
	v_mov_b32_e32 v0, v18
.LBB0_18:
	s_or_b32 exec_lo, exec_lo, s1
	v_cmp_gt_u32_e64 s1, 24, v26
	s_and_b32 s1, vcc_lo, s1
	s_and_saveexec_b32 s4, s1
	s_cbranch_execz .LBB0_20
; %bb.19:
	v_subrev_nc_u32_e32 v18, 24, v26
	v_mov_b32_e32 v19, 0
	v_mul_lo_u32 v49, s2, v28
	v_lshlrev_b64 v[24:25], 3, v[24:25]
	v_cndmask_b32_e64 v18, v18, v26, s0
	v_mul_i32_i24_e32 v18, 10, v18
	v_lshlrev_b64 v[29:30], 3, v[18:19]
	v_mul_lo_u32 v18, s3, v27
	v_mad_u64_u32 v[27:28], null, s2, v27, 0
	v_add_co_u32 v45, vcc_lo, s12, v29
	v_add_co_ci_u32_e32 v46, vcc_lo, s13, v30, vcc_lo
	v_add3_u32 v28, v28, v49, v18
	s_clause 0x4
	global_load_dwordx4 v[29:32], v[45:46], off offset:192
	global_load_dwordx4 v[33:36], v[45:46], off offset:128
	;; [unrolled: 1-line block ×5, first 2 shown]
	v_lshlrev_b64 v[49:50], 3, v[27:28]
	v_mov_b32_e32 v27, v19
	v_lshlrev_b64 v[18:19], 3, v[26:27]
	v_add_co_u32 v28, vcc_lo, s10, v49
	v_add_co_ci_u32_e32 v49, vcc_lo, s11, v50, vcc_lo
	v_add_co_u32 v24, vcc_lo, v28, v24
	v_add_co_ci_u32_e32 v25, vcc_lo, v49, v25, vcc_lo
	v_add_co_u32 v18, vcc_lo, v24, v18
	v_add_co_ci_u32_e32 v19, vcc_lo, v25, v19, vcc_lo
	s_waitcnt vmcnt(4) lgkmcnt(0)
	v_mul_f32_e32 v24, v23, v31
	s_waitcnt vmcnt(3)
	v_mul_f32_e32 v25, v9, v33
	v_mul_f32_e32 v26, v9, v34
	;; [unrolled: 1-line block ×7, first 2 shown]
	s_waitcnt vmcnt(2)
	v_mul_f32_e32 v11, v1, v39
	s_waitcnt vmcnt(1)
	v_mul_f32_e32 v50, v13, v41
	v_mul_f32_e32 v51, v13, v42
	;; [unrolled: 1-line block ×7, first 2 shown]
	s_waitcnt vmcnt(0)
	v_mul_f32_e32 v15, v7, v47
	v_mul_f32_e32 v17, v5, v45
	;; [unrolled: 1-line block ×4, first 2 shown]
	v_fmac_f32_e32 v25, v8, v34
	v_fma_f32 v26, v8, v33, -v26
	v_fmac_f32_e32 v27, v10, v36
	v_fmac_f32_e32 v24, v22, v32
	v_fma_f32 v1, v22, v31, -v23
	v_fmac_f32_e32 v9, v20, v30
	v_fma_f32 v10, v10, v35, -v28
	v_fma_f32 v5, v20, v29, -v49
	v_fmac_f32_e32 v11, v0, v40
	v_fmac_f32_e32 v50, v12, v42
	v_fma_f32 v12, v12, v41, -v51
	v_fma_f32 v0, v0, v39, -v52
	v_fmac_f32_e32 v13, v16, v38
	;; [unrolled: 4-line block ×3, first 2 shown]
	v_fmac_f32_e32 v17, v4, v46
	v_fma_f32 v8, v4, v45, -v55
	v_fma_f32 v4, v6, v47, -v56
	v_add_f32_e32 v6, v24, v25
	v_sub_f32_e32 v16, v26, v1
	v_add_f32_e32 v20, v9, v27
	v_add_f32_e32 v29, v1, v26
	v_sub_f32_e32 v30, v25, v24
	v_add_f32_e32 v25, v3, v25
	;; [unrolled: 3-line block ×3, first 2 shown]
	v_sub_f32_e32 v28, v12, v0
	v_add_f32_e32 v31, v13, v21
	v_sub_f32_e32 v32, v14, v7
	v_add_f32_e32 v33, v15, v17
	v_sub_f32_e32 v34, v8, v4
	v_sub_f32_e32 v35, v27, v9
	v_add_f32_e32 v36, v5, v10
	v_sub_f32_e32 v37, v50, v11
	v_sub_f32_e32 v39, v21, v13
	;; [unrolled: 1-line block ×3, first 2 shown]
	v_mul_f32_e32 v43, 0xbf75a155, v6
	v_mul_f32_e32 v44, 0x3f575c64, v20
	;; [unrolled: 1-line block ×10, first 2 shown]
	v_add_f32_e32 v25, v25, v27
	v_add_f32_e32 v10, v26, v10
	;; [unrolled: 1-line block ×5, first 2 shown]
	v_mul_f32_e32 v45, 0xbf27a4f4, v23
	v_mul_f32_e32 v48, 0x3f7d64f0, v22
	;; [unrolled: 1-line block ×40, first 2 shown]
	v_fmamk_f32 v87, v16, 0x3e903f40, v43
	v_fmamk_f32 v88, v22, 0xbf0a6770, v44
	;; [unrolled: 1-line block ×3, first 2 shown]
	v_fmac_f32_e32 v43, 0xbe903f40, v16
	v_fmac_f32_e32 v44, 0x3f0a6770, v22
	v_fma_f32 v16, 0xbf75a155, v29, -v46
	v_fmamk_f32 v22, v6, 0xbf27a4f4, v47
	v_fma_f32 v46, 0xbf27a4f4, v29, -v51
	v_fmamk_f32 v91, v6, 0xbe11bafb, v52
	;; [unrolled: 2-line block ×4, first 2 shown]
	v_fma_f32 v47, 0xbf27a4f4, v6, -v47
	v_fma_f32 v52, 0xbe11bafb, v6, -v52
	v_fma_f32 v56, 0x3ed4b147, v6, -v56
	v_fma_f32 v6, 0x3f575c64, v6, -v60
	v_add_f32_e32 v25, v25, v50
	v_add_f32_e32 v10, v10, v12
	v_fmamk_f32 v89, v28, 0x3f4178ce, v45
	v_fmac_f32_e32 v45, 0xbf4178ce, v28
	v_fmamk_f32 v28, v20, 0xbe11bafb, v48
	v_fma_f32 v60, 0x3f575c64, v29, -v30
	v_fmac_f32_e32 v51, 0xbf27a4f4, v29
	v_fmac_f32_e32 v55, 0xbe11bafb, v29
	;; [unrolled: 1-line block ×4, first 2 shown]
	v_fmamk_f32 v29, v20, 0xbf75a155, v53
	v_fmamk_f32 v96, v20, 0xbf27a4f4, v57
	;; [unrolled: 1-line block ×3, first 2 shown]
	v_fma_f32 v48, 0xbe11bafb, v20, -v48
	v_fma_f32 v53, 0xbf75a155, v20, -v53
	;; [unrolled: 1-line block ×4, first 2 shown]
	v_fmamk_f32 v61, v23, 0x3f575c64, v49
	v_fma_f32 v49, 0x3f575c64, v23, -v49
	v_fmamk_f32 v98, v23, 0x3ed4b147, v54
	v_fma_f32 v54, 0x3ed4b147, v23, -v54
	;; [unrolled: 2-line block ×4, first 2 shown]
	v_fmamk_f32 v62, v32, 0xbf68dda4, v63
	v_fmac_f32_e32 v63, 0x3f68dda4, v32
	v_fmamk_f32 v32, v31, 0xbf75a155, v64
	v_fma_f32 v64, 0xbf75a155, v31, -v64
	v_fmamk_f32 v101, v31, 0x3f575c64, v65
	v_fma_f32 v65, 0x3f575c64, v31, -v65
	;; [unrolled: 2-line block ×4, first 2 shown]
	v_fmamk_f32 v67, v34, 0x3f7d64f0, v68
	v_fmac_f32_e32 v68, 0xbf7d64f0, v34
	v_fmamk_f32 v34, v33, 0x3ed4b147, v69
	v_fma_f32 v69, 0x3ed4b147, v33, -v69
	v_fmamk_f32 v104, v33, 0xbf27a4f4, v70
	v_fma_f32 v70, 0xbf27a4f4, v33, -v70
	;; [unrolled: 2-line block ×5, first 2 shown]
	v_fma_f32 v107, 0xbe11bafb, v36, -v27
	v_fmac_f32_e32 v27, 0xbe11bafb, v36
	v_fma_f32 v108, 0xbf75a155, v36, -v73
	v_fmac_f32_e32 v73, 0xbf75a155, v36
	v_fma_f32 v109, 0xbf27a4f4, v36, -v74
	v_fmac_f32_e32 v74, 0xbf27a4f4, v36
	v_fma_f32 v110, 0x3ed4b147, v36, -v35
	v_fmac_f32_e32 v35, 0x3ed4b147, v36
	v_fmamk_f32 v12, v38, 0xbf27a4f4, v75
	v_fma_f32 v36, 0xbf27a4f4, v38, -v75
	v_fma_f32 v50, 0x3f575c64, v38, -v76
	v_fmac_f32_e32 v76, 0x3f575c64, v38
	v_fma_f32 v75, 0x3ed4b147, v38, -v77
	v_fmac_f32_e32 v77, 0x3ed4b147, v38
	v_fma_f32 v111, 0xbf75a155, v38, -v78
	v_fmac_f32_e32 v78, 0xbf75a155, v38
	v_fma_f32 v112, 0xbe11bafb, v38, -v37
	v_fmac_f32_e32 v37, 0xbe11bafb, v38
	v_fmamk_f32 v38, v40, 0x3ed4b147, v79
	v_fma_f32 v79, 0x3ed4b147, v40, -v79
	;; [unrolled: 10-line block ×3, first 2 shown]
	v_fma_f32 v117, 0x3ed4b147, v42, -v84
	v_fmac_f32_e32 v84, 0x3ed4b147, v42
	v_fma_f32 v118, 0xbf27a4f4, v42, -v85
	v_fmac_f32_e32 v85, 0xbf27a4f4, v42
	;; [unrolled: 2-line block ×4, first 2 shown]
	v_add_f32_e32 v42, v3, v87
	v_add_f32_e32 v87, v2, v90
	v_add_f32_e32 v43, v3, v43
	v_add_f32_e32 v16, v2, v16
	v_add_f32_e32 v22, v3, v22
	v_add_f32_e32 v46, v2, v46
	v_add_f32_e32 v90, v3, v91
	v_add_f32_e32 v91, v2, v92
	v_add_f32_e32 v92, v3, v93
	v_add_f32_e32 v93, v2, v94
	v_add_f32_e32 v94, v3, v95
	v_add_f32_e32 v47, v3, v47
	v_add_f32_e32 v52, v3, v52
	v_add_f32_e32 v56, v3, v56
	v_add_f32_e32 v3, v3, v6
	v_add_f32_e32 v6, v25, v21
	v_add_f32_e32 v10, v10, v14
	v_add_f32_e32 v60, v2, v60
	v_add_f32_e32 v51, v2, v51
	v_add_f32_e32 v55, v2, v55
	v_add_f32_e32 v59, v2, v59
	v_add_f32_e32 v2, v2, v30
	v_add_f32_e32 v14, v42, v88
	v_add_f32_e32 v21, v87, v72
	v_add_f32_e32 v25, v43, v44
	v_add_f32_e32 v16, v16, v26
	v_add_f32_e32 v22, v22, v28
	v_add_f32_e32 v26, v46, v107
	v_add_f32_e32 v28, v90, v29
	v_add_f32_e32 v29, v91, v108
	v_add_f32_e32 v30, v92, v96
	v_add_f32_e32 v42, v93, v109
	v_add_f32_e32 v43, v94, v97
	v_add_f32_e32 v6, v6, v17
	v_add_f32_e32 v8, v10, v8
	v_add_f32_e32 v3, v3, v20
	v_add_f32_e32 v12, v21, v12
	v_add_f32_e32 v20, v25, v45
	v_add_f32_e32 v21, v22, v61
	v_add_f32_e32 v22, v26, v50
	v_add_f32_e32 v25, v28, v98
	v_add_f32_e32 v26, v29, v75
	v_add_f32_e32 v28, v30, v99
	v_add_f32_e32 v29, v42, v111
	v_add_f32_e32 v30, v43, v100
	v_add_f32_e32 v6, v15, v6
	v_add_f32_e32 v4, v4, v8
	v_add_f32_e32 v44, v60, v110
	v_add_f32_e32 v10, v47, v48
	v_add_f32_e32 v17, v51, v27
	v_add_f32_e32 v27, v52, v53
	v_add_f32_e32 v46, v55, v73
	v_add_f32_e32 v47, v56, v57
	v_add_f32_e32 v48, v59, v74
	v_add_f32_e32 v3, v3, v23
	v_add_f32_e32 v21, v21, v32
	v_add_f32_e32 v23, v25, v101
	v_add_f32_e32 v25, v26, v114
	v_add_f32_e32 v26, v28, v102
	v_add_f32_e32 v28, v29, v115
	v_add_f32_e32 v29, v30, v103
	v_add_f32_e32 v32, v13, v6
	v_add_f32_e32 v4, v7, v4
	v_add_f32_e32 v2, v2, v35
	v_add_f32_e32 v14, v14, v89
	v_add_f32_e32 v35, v44, v112
	v_add_f32_e32 v16, v16, v36
	v_add_f32_e32 v8, v10, v49
	v_add_f32_e32 v10, v17, v76
	v_add_f32_e32 v15, v27, v54
	v_add_f32_e32 v17, v46, v77
	v_add_f32_e32 v27, v47, v58
	v_add_f32_e32 v36, v48, v78
	v_add_f32_e32 v13, v21, v34
	v_add_f32_e32 v21, v29, v106
	v_add_f32_e32 v29, v11, v32
	v_add_f32_e32 v0, v0, v4
	v_add_f32_e32 v2, v2, v37
	v_add_f32_e32 v14, v14, v62
	v_add_f32_e32 v12, v12, v38
	v_add_f32_e32 v20, v20, v63
	v_add_f32_e32 v30, v35, v116
	v_add_f32_e32 v16, v16, v79
	v_add_f32_e32 v8, v8, v64
	v_add_f32_e32 v10, v10, v80
	v_add_f32_e32 v22, v22, v113
	v_add_f32_e32 v35, v15, v65
	v_add_f32_e32 v37, v17, v81
	v_add_f32_e32 v27, v27, v66
	v_add_f32_e32 v36, v36, v82
	v_add_f32_e32 v4, v9, v29
	v_add_f32_e32 v0, v5, v0
	v_add_f32_e32 v31, v3, v31
	v_add_f32_e32 v38, v2, v39
	v_add_f32_e32 v3, v14, v67
	v_add_f32_e32 v2, v12, v40
	v_add_f32_e32 v7, v20, v68
	v_add_f32_e32 v20, v30, v120
	v_add_f32_e32 v6, v16, v83
	v_add_f32_e32 v17, v26, v105
	v_add_f32_e32 v16, v28, v119
	v_add_f32_e32 v11, v8, v69
	v_add_f32_e32 v10, v10, v84
	v_add_f32_e32 v12, v22, v117
	v_add_f32_e32 v15, v23, v104
	v_add_f32_e32 v14, v25, v118
	v_add_f32_e32 v23, v35, v70
	v_add_f32_e32 v22, v37, v85
	v_add_f32_e32 v26, v27, v71
	v_add_f32_e32 v25, v36, v86
	v_add_f32_e32 v5, v24, v4
	v_add_f32_e32 v4, v1, v0
	v_add_f32_e32 v28, v31, v33
	v_add_f32_e32 v27, v38, v41
	global_store_dwordx2 v[18:19], v[20:21], off offset:192
	global_store_dwordx2 v[18:19], v[16:17], off offset:384
	global_store_dwordx2 v[18:19], v[14:15], off offset:576
	global_store_dwordx2 v[18:19], v[12:13], off offset:768
	global_store_dwordx2 v[18:19], v[6:7], off offset:960
	global_store_dwordx2 v[18:19], v[2:3], off offset:1152
	global_store_dwordx2 v[18:19], v[10:11], off offset:1344
	global_store_dwordx2 v[18:19], v[22:23], off offset:1536
	global_store_dwordx2 v[18:19], v[25:26], off offset:1728
	global_store_dwordx2 v[18:19], v[4:5], off
	global_store_dwordx2 v[18:19], v[27:28], off offset:1920
.LBB0_20:
	s_endpgm
	.section	.rodata,"a",@progbits
	.p2align	6, 0x0
	.amdhsa_kernel fft_rtc_fwd_len264_factors_8_3_11_wgs_231_tpt_33_sp_op_CI_CI_unitstride_sbrr_dirReg
		.amdhsa_group_segment_fixed_size 0
		.amdhsa_private_segment_fixed_size 0
		.amdhsa_kernarg_size 104
		.amdhsa_user_sgpr_count 6
		.amdhsa_user_sgpr_private_segment_buffer 1
		.amdhsa_user_sgpr_dispatch_ptr 0
		.amdhsa_user_sgpr_queue_ptr 0
		.amdhsa_user_sgpr_kernarg_segment_ptr 1
		.amdhsa_user_sgpr_dispatch_id 0
		.amdhsa_user_sgpr_flat_scratch_init 0
		.amdhsa_user_sgpr_private_segment_size 0
		.amdhsa_wavefront_size32 1
		.amdhsa_uses_dynamic_stack 0
		.amdhsa_system_sgpr_private_segment_wavefront_offset 0
		.amdhsa_system_sgpr_workgroup_id_x 1
		.amdhsa_system_sgpr_workgroup_id_y 0
		.amdhsa_system_sgpr_workgroup_id_z 0
		.amdhsa_system_sgpr_workgroup_info 0
		.amdhsa_system_vgpr_workitem_id 0
		.amdhsa_next_free_vgpr 121
		.amdhsa_next_free_sgpr 27
		.amdhsa_reserve_vcc 1
		.amdhsa_reserve_flat_scratch 0
		.amdhsa_float_round_mode_32 0
		.amdhsa_float_round_mode_16_64 0
		.amdhsa_float_denorm_mode_32 3
		.amdhsa_float_denorm_mode_16_64 3
		.amdhsa_dx10_clamp 1
		.amdhsa_ieee_mode 1
		.amdhsa_fp16_overflow 0
		.amdhsa_workgroup_processor_mode 1
		.amdhsa_memory_ordered 1
		.amdhsa_forward_progress 0
		.amdhsa_shared_vgpr_count 0
		.amdhsa_exception_fp_ieee_invalid_op 0
		.amdhsa_exception_fp_denorm_src 0
		.amdhsa_exception_fp_ieee_div_zero 0
		.amdhsa_exception_fp_ieee_overflow 0
		.amdhsa_exception_fp_ieee_underflow 0
		.amdhsa_exception_fp_ieee_inexact 0
		.amdhsa_exception_int_div_zero 0
	.end_amdhsa_kernel
	.text
.Lfunc_end0:
	.size	fft_rtc_fwd_len264_factors_8_3_11_wgs_231_tpt_33_sp_op_CI_CI_unitstride_sbrr_dirReg, .Lfunc_end0-fft_rtc_fwd_len264_factors_8_3_11_wgs_231_tpt_33_sp_op_CI_CI_unitstride_sbrr_dirReg
                                        ; -- End function
	.section	.AMDGPU.csdata,"",@progbits
; Kernel info:
; codeLenInByte = 5108
; NumSgprs: 29
; NumVgprs: 121
; ScratchSize: 0
; MemoryBound: 0
; FloatMode: 240
; IeeeMode: 1
; LDSByteSize: 0 bytes/workgroup (compile time only)
; SGPRBlocks: 3
; VGPRBlocks: 15
; NumSGPRsForWavesPerEU: 29
; NumVGPRsForWavesPerEU: 121
; Occupancy: 8
; WaveLimiterHint : 1
; COMPUTE_PGM_RSRC2:SCRATCH_EN: 0
; COMPUTE_PGM_RSRC2:USER_SGPR: 6
; COMPUTE_PGM_RSRC2:TRAP_HANDLER: 0
; COMPUTE_PGM_RSRC2:TGID_X_EN: 1
; COMPUTE_PGM_RSRC2:TGID_Y_EN: 0
; COMPUTE_PGM_RSRC2:TGID_Z_EN: 0
; COMPUTE_PGM_RSRC2:TIDIG_COMP_CNT: 0
	.text
	.p2alignl 6, 3214868480
	.fill 48, 4, 3214868480
	.type	__hip_cuid_3c46e6ce12f28c03,@object ; @__hip_cuid_3c46e6ce12f28c03
	.section	.bss,"aw",@nobits
	.globl	__hip_cuid_3c46e6ce12f28c03
__hip_cuid_3c46e6ce12f28c03:
	.byte	0                               ; 0x0
	.size	__hip_cuid_3c46e6ce12f28c03, 1

	.ident	"AMD clang version 19.0.0git (https://github.com/RadeonOpenCompute/llvm-project roc-6.4.0 25133 c7fe45cf4b819c5991fe208aaa96edf142730f1d)"
	.section	".note.GNU-stack","",@progbits
	.addrsig
	.addrsig_sym __hip_cuid_3c46e6ce12f28c03
	.amdgpu_metadata
---
amdhsa.kernels:
  - .args:
      - .actual_access:  read_only
        .address_space:  global
        .offset:         0
        .size:           8
        .value_kind:     global_buffer
      - .offset:         8
        .size:           8
        .value_kind:     by_value
      - .actual_access:  read_only
        .address_space:  global
        .offset:         16
        .size:           8
        .value_kind:     global_buffer
      - .actual_access:  read_only
        .address_space:  global
        .offset:         24
        .size:           8
        .value_kind:     global_buffer
      - .actual_access:  read_only
        .address_space:  global
        .offset:         32
        .size:           8
        .value_kind:     global_buffer
      - .offset:         40
        .size:           8
        .value_kind:     by_value
      - .actual_access:  read_only
        .address_space:  global
        .offset:         48
        .size:           8
        .value_kind:     global_buffer
      - .actual_access:  read_only
        .address_space:  global
        .offset:         56
        .size:           8
        .value_kind:     global_buffer
      - .offset:         64
        .size:           4
        .value_kind:     by_value
      - .actual_access:  read_only
        .address_space:  global
        .offset:         72
        .size:           8
        .value_kind:     global_buffer
      - .actual_access:  read_only
        .address_space:  global
        .offset:         80
        .size:           8
        .value_kind:     global_buffer
      - .actual_access:  read_only
        .address_space:  global
        .offset:         88
        .size:           8
        .value_kind:     global_buffer
      - .actual_access:  write_only
        .address_space:  global
        .offset:         96
        .size:           8
        .value_kind:     global_buffer
    .group_segment_fixed_size: 0
    .kernarg_segment_align: 8
    .kernarg_segment_size: 104
    .language:       OpenCL C
    .language_version:
      - 2
      - 0
    .max_flat_workgroup_size: 231
    .name:           fft_rtc_fwd_len264_factors_8_3_11_wgs_231_tpt_33_sp_op_CI_CI_unitstride_sbrr_dirReg
    .private_segment_fixed_size: 0
    .sgpr_count:     29
    .sgpr_spill_count: 0
    .symbol:         fft_rtc_fwd_len264_factors_8_3_11_wgs_231_tpt_33_sp_op_CI_CI_unitstride_sbrr_dirReg.kd
    .uniform_work_group_size: 1
    .uses_dynamic_stack: false
    .vgpr_count:     121
    .vgpr_spill_count: 0
    .wavefront_size: 32
    .workgroup_processor_mode: 1
amdhsa.target:   amdgcn-amd-amdhsa--gfx1030
amdhsa.version:
  - 1
  - 2
...

	.end_amdgpu_metadata
